;; amdgpu-corpus repo=FlagOpen/FlagGems kind=triton arch=gfx950 opt=O3 lang=triton
	.amdgcn_target "amdgcn-amd-amdhsa--gfx950"
	.amdhsa_code_object_version 5
	.text
	.globl	linspace_kernel                 ; -- Begin function linspace_kernel
	.p2align	8
	.type	linspace_kernel,@function
linspace_kernel:                        ; @linspace_kernel
.Lfunc_begin0:
	.cfi_sections .debug_frame
	.cfi_startproc
; %bb.9:
	.file	1 "/root/src/amdgpu-assembly/repos/FlagOpen__FlagGems/triton_aot_kernels" "linspace_aot.py"
	.loc	1 8 0 prologue_end              ; linspace_aot.py:8:0
	s_load_dwordx2 s[2:3], s[0:1], 0x0
	s_load_dwordx8 s[4:11], s[0:1], 0x8
	s_load_dwordx2 s[12:13], s[0:1], 0x28
	s_waitcnt lgkmcnt(0)
	s_branch .LBB0_0
	.loc	1 0 0 is_stmt 0                 ; :0:0
.Ltmp0:
	.p2align	8
; %bb.10:
.LBB0_0:
.Ltmp1:
	.loc	1 19 42 is_stmt 1               ; linspace_aot.py:19:42
	v_readfirstlane_b32 s0, v0
	.loc	1 26 42                         ; linspace_aot.py:26:42
	s_and_b32 s0, s0, 0xc0
	.loc	1 19 42                         ; linspace_aot.py:19:42
	s_nop 0
	v_and_or_b32 v0, v0, 63, s0
	.loc	1 19 29 is_stmt 0               ; linspace_aot.py:19:29
	v_lshl_or_b32 v0, s14, 10, v0
	.loc	1 20 17 is_stmt 1               ; linspace_aot.py:20:17
	v_cmp_gt_i32_e32 vcc, s9, v0
	.loc	1 26 42                         ; linspace_aot.py:26:42
	s_and_saveexec_b64 s[0:1], vcc
	s_cbranch_execz .LBB0_2
; %bb.1:
	.loc	1 23 49                         ; linspace_aot.py:23:49
	v_xad_u32 v2, v0, -1, s9
	.loc	1 21 20                         ; linspace_aot.py:21:20
	v_cvt_f32_i32_e32 v1, v0
	.loc	1 23 35                         ; linspace_aot.py:23:35
	v_cvt_f32_i32_e32 v2, v2
	.loc	1 22 25                         ; linspace_aot.py:22:25
	v_mov_b32_e32 v3, s5
	.loc	1 23 22                         ; linspace_aot.py:23:22
	v_mov_b32_e32 v4, s7
	.loc	1 22 25                         ; linspace_aot.py:22:25
	v_fma_f32 v3, s8, v1, v3
	.loc	1 23 22                         ; linspace_aot.py:23:22
	v_fma_f32 v2, -s8, v2, v4
	.loc	1 21 20                         ; linspace_aot.py:21:20
	v_cmp_gt_f32_e32 vcc, s6, v1
	.loc	1 25 43                         ; linspace_aot.py:25:43
	s_nop 1
	v_cndmask_b32_e32 v1, v2, v3, vcc
	.loc	1 26 29                         ; linspace_aot.py:26:29
	v_mul_lo_u32 v2, v0, s4
	.loc	1 26 23 is_stmt 0               ; linspace_aot.py:26:23
	v_ashrrev_i32_e32 v3, 31, v2
	v_lshl_add_u64 v[2:3], v[2:3], 2, s[2:3]
	.loc	1 26 42                         ; linspace_aot.py:26:42
	global_store_dword v[2:3], v1, off
.LBB0_2:
	.loc	1 0 42                          ; linspace_aot.py:0:42
	s_or_b64 exec, exec, s[0:1]
	.loc	1 19 29 is_stmt 1               ; linspace_aot.py:19:29
	v_or_b32_e32 v1, 0x100, v0
	.loc	1 20 17                         ; linspace_aot.py:20:17
	v_cmp_gt_i32_e32 vcc, s9, v1
	.loc	1 26 42                         ; linspace_aot.py:26:42
	s_and_saveexec_b64 s[0:1], vcc
	s_cbranch_execz .LBB0_4
; %bb.3:
	.loc	1 23 49                         ; linspace_aot.py:23:49
	v_xor_b32_e32 v3, 0xfffffeff, v0
	v_add_u32_e32 v3, s9, v3
	.loc	1 21 20                         ; linspace_aot.py:21:20
	v_cvt_f32_i32_e32 v2, v1
	.loc	1 23 35                         ; linspace_aot.py:23:35
	v_cvt_f32_i32_e32 v3, v3
	.loc	1 22 25                         ; linspace_aot.py:22:25
	v_mov_b32_e32 v4, s5
	.loc	1 23 22                         ; linspace_aot.py:23:22
	v_mov_b32_e32 v5, s7
	.loc	1 22 25                         ; linspace_aot.py:22:25
	v_fma_f32 v4, s8, v2, v4
	.loc	1 23 22                         ; linspace_aot.py:23:22
	v_fma_f32 v3, -s8, v3, v5
	.loc	1 21 20                         ; linspace_aot.py:21:20
	v_cmp_gt_f32_e32 vcc, s6, v2
	.loc	1 26 29                         ; linspace_aot.py:26:29
	v_mul_lo_u32 v2, v1, s4
	.loc	1 25 43                         ; linspace_aot.py:25:43
	s_nop 0
	v_cndmask_b32_e32 v4, v3, v4, vcc
	.loc	1 26 23                         ; linspace_aot.py:26:23
	v_ashrrev_i32_e32 v3, 31, v2
	v_lshl_add_u64 v[2:3], v[2:3], 2, s[2:3]
	.loc	1 26 42 is_stmt 0               ; linspace_aot.py:26:42
	global_store_dword v[2:3], v4, off
.LBB0_4:
	.loc	1 0 42                          ; linspace_aot.py:0:42
	s_or_b64 exec, exec, s[0:1]
	.loc	1 19 29 is_stmt 1               ; linspace_aot.py:19:29
	v_or_b32_e32 v1, 0x200, v0
	.loc	1 20 17                         ; linspace_aot.py:20:17
	v_cmp_gt_i32_e32 vcc, s9, v1
	.loc	1 26 42                         ; linspace_aot.py:26:42
	s_and_saveexec_b64 s[0:1], vcc
	s_cbranch_execz .LBB0_6
; %bb.5:
	.loc	1 23 49                         ; linspace_aot.py:23:49
	v_xor_b32_e32 v3, 0xfffffdff, v0
	v_add_u32_e32 v3, s9, v3
	.loc	1 21 20                         ; linspace_aot.py:21:20
	v_cvt_f32_i32_e32 v2, v1
	.loc	1 23 35                         ; linspace_aot.py:23:35
	v_cvt_f32_i32_e32 v3, v3
	.loc	1 22 25                         ; linspace_aot.py:22:25
	v_mov_b32_e32 v4, s5
	.loc	1 23 22                         ; linspace_aot.py:23:22
	v_mov_b32_e32 v5, s7
	.loc	1 22 25                         ; linspace_aot.py:22:25
	v_fma_f32 v4, s8, v2, v4
	.loc	1 23 22                         ; linspace_aot.py:23:22
	v_fma_f32 v3, -s8, v3, v5
	.loc	1 21 20                         ; linspace_aot.py:21:20
	v_cmp_gt_f32_e32 vcc, s6, v2
	.loc	1 26 29                         ; linspace_aot.py:26:29
	v_mul_lo_u32 v2, v1, s4
	.loc	1 25 43                         ; linspace_aot.py:25:43
	s_nop 0
	v_cndmask_b32_e32 v4, v3, v4, vcc
	.loc	1 26 23                         ; linspace_aot.py:26:23
	v_ashrrev_i32_e32 v3, 31, v2
	v_lshl_add_u64 v[2:3], v[2:3], 2, s[2:3]
	.loc	1 26 42 is_stmt 0               ; linspace_aot.py:26:42
	global_store_dword v[2:3], v4, off
.LBB0_6:
	.loc	1 0 42                          ; linspace_aot.py:0:42
	s_or_b64 exec, exec, s[0:1]
	.loc	1 19 29 is_stmt 1               ; linspace_aot.py:19:29
	v_or_b32_e32 v1, 0x300, v0
	.loc	1 20 17                         ; linspace_aot.py:20:17
	v_cmp_gt_i32_e32 vcc, s9, v1
	.loc	1 26 42                         ; linspace_aot.py:26:42
	s_and_saveexec_b64 s[0:1], vcc
	s_cbranch_execz .LBB0_8
; %bb.7:
	.loc	1 23 49                         ; linspace_aot.py:23:49
	v_xor_b32_e32 v0, 0xfffffcff, v0
	v_add_u32_e32 v0, s9, v0
	.loc	1 21 20                         ; linspace_aot.py:21:20
	v_cvt_f32_i32_e32 v2, v1
	.loc	1 23 35                         ; linspace_aot.py:23:35
	v_cvt_f32_i32_e32 v0, v0
	.loc	1 22 25                         ; linspace_aot.py:22:25
	v_mov_b32_e32 v3, s5
	.loc	1 23 22                         ; linspace_aot.py:23:22
	v_mov_b32_e32 v4, s7
	.loc	1 22 25                         ; linspace_aot.py:22:25
	v_fmac_f32_e32 v3, s8, v2
	.loc	1 23 22                         ; linspace_aot.py:23:22
	v_fma_f32 v0, -s8, v0, v4
	.loc	1 21 20                         ; linspace_aot.py:21:20
	v_cmp_gt_f32_e32 vcc, s6, v2
	.loc	1 25 43                         ; linspace_aot.py:25:43
	s_nop 1
	v_cndmask_b32_e32 v2, v0, v3, vcc
	.loc	1 26 29                         ; linspace_aot.py:26:29
	v_mul_lo_u32 v0, v1, s4
	.loc	1 26 23 is_stmt 0               ; linspace_aot.py:26:23
	v_ashrrev_i32_e32 v1, 31, v0
	v_lshl_add_u64 v[0:1], v[0:1], 2, s[2:3]
	.loc	1 26 42                         ; linspace_aot.py:26:42
	global_store_dword v[0:1], v2, off
.LBB0_8:
	.loc	1 26 4                          ; linspace_aot.py:26:4
	s_endpgm
.Ltmp2:
	.section	.rodata,"a",@progbits
	.p2align	6, 0x0
	.amdhsa_kernel linspace_kernel
		.amdhsa_group_segment_fixed_size 0
		.amdhsa_private_segment_fixed_size 0
		.amdhsa_kernarg_size 48
		.amdhsa_user_sgpr_count 14
		.amdhsa_user_sgpr_dispatch_ptr 0
		.amdhsa_user_sgpr_queue_ptr 0
		.amdhsa_user_sgpr_kernarg_segment_ptr 1
		.amdhsa_user_sgpr_dispatch_id 0
		.amdhsa_user_sgpr_kernarg_preload_length 12
		.amdhsa_user_sgpr_kernarg_preload_offset 0
		.amdhsa_user_sgpr_private_segment_size 0
		.amdhsa_uses_dynamic_stack 0
		.amdhsa_enable_private_segment 0
		.amdhsa_system_sgpr_workgroup_id_x 1
		.amdhsa_system_sgpr_workgroup_id_y 0
		.amdhsa_system_sgpr_workgroup_id_z 0
		.amdhsa_system_sgpr_workgroup_info 0
		.amdhsa_system_vgpr_workitem_id 0
		.amdhsa_next_free_vgpr 6
		.amdhsa_next_free_sgpr 15
		.amdhsa_accum_offset 8
		.amdhsa_reserve_vcc 1
		.amdhsa_reserve_xnack_mask 1
		.amdhsa_float_round_mode_32 0
		.amdhsa_float_round_mode_16_64 0
		.amdhsa_float_denorm_mode_32 3
		.amdhsa_float_denorm_mode_16_64 3
		.amdhsa_dx10_clamp 1
		.amdhsa_ieee_mode 1
		.amdhsa_fp16_overflow 0
		.amdhsa_tg_split 0
		.amdhsa_exception_fp_ieee_invalid_op 0
		.amdhsa_exception_fp_denorm_src 0
		.amdhsa_exception_fp_ieee_div_zero 0
		.amdhsa_exception_fp_ieee_overflow 0
		.amdhsa_exception_fp_ieee_underflow 0
		.amdhsa_exception_fp_ieee_inexact 0
		.amdhsa_exception_int_div_zero 0
	.end_amdhsa_kernel
	.text
.Lfunc_end0:
	.size	linspace_kernel, .Lfunc_end0-linspace_kernel
	.cfi_endproc
                                        ; -- End function
	.set linspace_kernel.num_vgpr, 6
	.set linspace_kernel.num_agpr, 0
	.set linspace_kernel.numbered_sgpr, 15
	.set linspace_kernel.num_named_barrier, 0
	.set linspace_kernel.private_seg_size, 0
	.set linspace_kernel.uses_vcc, 1
	.set linspace_kernel.uses_flat_scratch, 0
	.set linspace_kernel.has_dyn_sized_stack, 0
	.set linspace_kernel.has_recursion, 0
	.set linspace_kernel.has_indirect_call, 0
	.section	.AMDGPU.csdata,"",@progbits
; Kernel info:
; codeLenInByte = 704
; TotalNumSgprs: 21
; NumVgprs: 6
; NumAgprs: 0
; TotalNumVgprs: 6
; ScratchSize: 0
; MemoryBound: 0
; FloatMode: 240
; IeeeMode: 1
; LDSByteSize: 0 bytes/workgroup (compile time only)
; SGPRBlocks: 2
; VGPRBlocks: 0
; NumSGPRsForWavesPerEU: 21
; NumVGPRsForWavesPerEU: 6
; AccumOffset: 8
; Occupancy: 8
; WaveLimiterHint : 0
; COMPUTE_PGM_RSRC2:SCRATCH_EN: 0
; COMPUTE_PGM_RSRC2:USER_SGPR: 14
; COMPUTE_PGM_RSRC2:TRAP_HANDLER: 0
; COMPUTE_PGM_RSRC2:TGID_X_EN: 1
; COMPUTE_PGM_RSRC2:TGID_Y_EN: 0
; COMPUTE_PGM_RSRC2:TGID_Z_EN: 0
; COMPUTE_PGM_RSRC2:TIDIG_COMP_CNT: 0
; COMPUTE_PGM_RSRC3_GFX90A:ACCUM_OFFSET: 1
; COMPUTE_PGM_RSRC3_GFX90A:TG_SPLIT: 0
	.text
	.p2alignl 6, 3212836864
	.fill 256, 4, 3212836864
	.section	.AMDGPU.gpr_maximums,"",@progbits
	.set amdgpu.max_num_vgpr, 0
	.set amdgpu.max_num_agpr, 0
	.set amdgpu.max_num_sgpr, 0
	.set amdgpu.max_num_named_barrier, 0
	.text
	.section	.debug_abbrev,"",@progbits
	.byte	1                               ; Abbreviation Code
	.byte	17                              ; DW_TAG_compile_unit
	.byte	0                               ; DW_CHILDREN_no
	.byte	37                              ; DW_AT_producer
	.byte	14                              ; DW_FORM_strp
	.byte	19                              ; DW_AT_language
	.byte	5                               ; DW_FORM_data2
	.byte	3                               ; DW_AT_name
	.byte	14                              ; DW_FORM_strp
	.byte	16                              ; DW_AT_stmt_list
	.byte	23                              ; DW_FORM_sec_offset
	.byte	27                              ; DW_AT_comp_dir
	.byte	14                              ; DW_FORM_strp
	.byte	17                              ; DW_AT_low_pc
	.byte	1                               ; DW_FORM_addr
	.byte	18                              ; DW_AT_high_pc
	.byte	6                               ; DW_FORM_data4
	.byte	0                               ; EOM(1)
	.byte	0                               ; EOM(2)
	;; [unrolled: 1-line block ×3, first 2 shown]
	.section	.debug_info,"",@progbits
.Lcu_begin0:
	.long	.Ldebug_info_end0-.Ldebug_info_start0 ; Length of Unit
.Ldebug_info_start0:
	.short	4                               ; DWARF version number
	.long	.debug_abbrev                   ; Offset Into Abbrev. Section
	.byte	8                               ; Address Size (in bytes)
	.byte	1                               ; Abbrev [1] 0xb:0x1f DW_TAG_compile_unit
	.long	.Linfo_string0                  ; DW_AT_producer
	.short	2                               ; DW_AT_language
	.long	.Linfo_string1                  ; DW_AT_name
	.long	.Lline_table_start0             ; DW_AT_stmt_list
	.long	.Linfo_string2                  ; DW_AT_comp_dir
	.quad	.Lfunc_begin0                   ; DW_AT_low_pc
	.long	.Lfunc_end0-.Lfunc_begin0       ; DW_AT_high_pc
.Ldebug_info_end0:
	.section	.debug_str,"MS",@progbits,1
.Linfo_string0:
	.asciz	"triton"                        ; string offset=0
.Linfo_string1:
	.asciz	"linspace_aot.py"               ; string offset=7
.Linfo_string2:
	.asciz	"/root/src/amdgpu-assembly/repos/FlagOpen__FlagGems/triton_aot_kernels" ; string offset=23
	.section	".note.GNU-stack","",@progbits
	.amdgpu_metadata
---
amdhsa.kernels:
  - .agpr_count:     0
    .args:
      - .address_space:  global
        .offset:         0
        .size:           8
        .value_kind:     global_buffer
      - .offset:         8
        .size:           4
        .value_kind:     by_value
      - .offset:         12
        .size:           4
        .value_kind:     by_value
      - .offset:         16
        .size:           4
        .value_kind:     by_value
      - .offset:         20
        .size:           4
        .value_kind:     by_value
      - .offset:         24
        .size:           4
        .value_kind:     by_value
      - .offset:         28
        .size:           4
        .value_kind:     by_value
      - .address_space:  global
        .offset:         32
        .size:           8
        .value_kind:     global_buffer
      - .address_space:  global
        .offset:         40
        .size:           8
        .value_kind:     global_buffer
    .group_segment_fixed_size: 0
    .kernarg_segment_align: 8
    .kernarg_segment_size: 48
    .max_flat_workgroup_size: 256
    .name:           linspace_kernel
    .private_segment_fixed_size: 0
    .sgpr_count:     21
    .sgpr_spill_count: 0
    .symbol:         linspace_kernel.kd
    .uniform_work_group_size: 1
    .uses_dynamic_stack: false
    .vgpr_count:     6
    .vgpr_spill_count: 0
    .wavefront_size: 64
amdhsa.target:   amdgcn-amd-amdhsa--gfx950
amdhsa.version:
  - 1
  - 2
...

	.end_amdgpu_metadata
	.section	.debug_line,"",@progbits
.Lline_table_start0:
